;; amdgpu-corpus repo=zjin-lcf/HeCBench kind=compiled arch=gfx906 opt=O3
	.amdgcn_target "amdgcn-amd-amdhsa--gfx906"
	.amdhsa_code_object_version 6
	.text
	.protected	_Z12crc64_kernelPmS_PKhPKmS3_mi ; -- Begin function _Z12crc64_kernelPmS_PKhPKmS3_mi
	.globl	_Z12crc64_kernelPmS_PKhPKmS3_mi
	.p2align	8
	.type	_Z12crc64_kernelPmS_PKhPKmS3_mi,@function
_Z12crc64_kernelPmS_PKhPKmS3_mi:        ; @_Z12crc64_kernelPmS_PKhPKmS3_mi
; %bb.0:
	s_load_dword s0, s[4:5], 0x30
	s_load_dwordx4 s[16:19], s[4:5], 0x20
	s_load_dwordx8 s[8:15], s[4:5], 0x0
	s_waitcnt lgkmcnt(0)
	s_ashr_i32 s1, s0, 31
	s_or_b64 s[2:3], s[18:19], s[0:1]
	s_mov_b32 s2, 0
	s_cmp_lg_u64 s[2:3], 0
	s_cbranch_scc0 .LBB0_20
; %bb.1:
	v_cvt_f32_u32_e32 v1, s0
	v_cvt_f32_u32_e32 v2, s1
	s_sub_u32 s7, 0, s0
	s_subb_u32 s22, 0, s1
	v_madmk_f32 v1, v2, 0x4f800000, v1
	v_rcp_f32_e32 v1, v1
	v_mul_f32_e32 v1, 0x5f7ffffc, v1
	v_mul_f32_e32 v2, 0x2f800000, v1
	v_trunc_f32_e32 v2, v2
	v_madmk_f32 v1, v2, 0xcf800000, v1
	v_cvt_u32_f32_e32 v2, v2
	v_cvt_u32_f32_e32 v1, v1
	v_readfirstlane_b32 s23, v2
	v_readfirstlane_b32 s20, v1
	s_mul_i32 s21, s7, s23
	s_mul_hi_u32 s25, s7, s20
	s_mul_i32 s24, s22, s20
	s_add_i32 s21, s25, s21
	s_add_i32 s21, s21, s24
	s_mul_i32 s26, s7, s20
	s_mul_i32 s25, s20, s21
	s_mul_hi_u32 s27, s20, s26
	s_mul_hi_u32 s24, s20, s21
	s_add_u32 s25, s27, s25
	s_addc_u32 s24, 0, s24
	s_mul_hi_u32 s28, s23, s26
	s_mul_i32 s26, s23, s26
	s_add_u32 s25, s25, s26
	s_mul_hi_u32 s27, s23, s21
	s_addc_u32 s24, s24, s28
	s_addc_u32 s25, s27, 0
	s_mul_i32 s21, s23, s21
	s_add_u32 s21, s24, s21
	s_addc_u32 s24, 0, s25
	s_add_u32 s25, s20, s21
	s_cselect_b64 s[20:21], -1, 0
	s_cmp_lg_u64 s[20:21], 0
	s_addc_u32 s23, s23, s24
	s_mul_i32 s20, s7, s23
	s_mul_hi_u32 s21, s7, s25
	s_add_i32 s20, s21, s20
	s_mul_i32 s22, s22, s25
	s_add_i32 s20, s20, s22
	s_mul_i32 s7, s7, s25
	s_mul_hi_u32 s22, s23, s7
	s_mul_i32 s24, s23, s7
	s_mul_i32 s27, s25, s20
	s_mul_hi_u32 s7, s25, s7
	s_mul_hi_u32 s26, s25, s20
	s_add_u32 s7, s7, s27
	s_addc_u32 s26, 0, s26
	s_add_u32 s7, s7, s24
	s_mul_hi_u32 s21, s23, s20
	s_addc_u32 s7, s26, s22
	s_addc_u32 s21, s21, 0
	s_mul_i32 s20, s23, s20
	s_add_u32 s7, s7, s20
	s_addc_u32 s22, 0, s21
	s_add_u32 s7, s25, s7
	s_cselect_b64 s[20:21], -1, 0
	s_cmp_lg_u64 s[20:21], 0
	s_addc_u32 s20, s23, s22
	s_mul_i32 s22, s18, s20
	s_mul_hi_u32 s23, s18, s7
	s_mul_hi_u32 s21, s18, s20
	s_add_u32 s22, s23, s22
	s_addc_u32 s21, 0, s21
	s_mul_hi_u32 s24, s19, s7
	s_mul_i32 s7, s19, s7
	s_add_u32 s7, s22, s7
	s_mul_hi_u32 s23, s19, s20
	s_addc_u32 s7, s21, s24
	s_addc_u32 s21, s23, 0
	s_mul_i32 s20, s19, s20
	s_add_u32 s7, s7, s20
	s_addc_u32 s24, 0, s21
	s_mul_i32 s20, s0, s24
	s_mul_hi_u32 s21, s0, s7
	s_add_i32 s20, s21, s20
	s_mul_i32 s21, s1, s7
	s_add_i32 s25, s20, s21
	s_sub_i32 s22, s19, s25
	s_mul_i32 s20, s0, s7
	s_sub_u32 s26, s18, s20
	s_cselect_b64 s[20:21], -1, 0
	s_cmp_lg_u64 s[20:21], 0
	s_subb_u32 s27, s22, s1
	s_sub_u32 s28, s26, s0
	s_cselect_b64 s[22:23], -1, 0
	s_cmp_lg_u64 s[22:23], 0
	s_subb_u32 s22, s27, 0
	s_cmp_ge_u32 s22, s1
	s_cselect_b32 s23, -1, 0
	s_cmp_ge_u32 s28, s0
	s_cselect_b32 s27, -1, 0
	s_cmp_eq_u32 s22, s1
	s_cselect_b32 s22, s27, s23
	s_add_u32 s23, s7, 1
	s_addc_u32 s27, s24, 0
	s_add_u32 s28, s7, 2
	s_addc_u32 s29, s24, 0
	s_cmp_lg_u32 s22, 0
	s_cselect_b32 s22, s28, s23
	s_cselect_b32 s23, s29, s27
	s_cmp_lg_u64 s[20:21], 0
	s_subb_u32 s20, s19, s25
	s_cmp_ge_u32 s20, s1
	s_cselect_b32 s21, -1, 0
	s_cmp_ge_u32 s26, s0
	s_cselect_b32 s25, -1, 0
	s_cmp_eq_u32 s20, s1
	s_cselect_b32 s1, s25, s21
	s_cmp_lg_u32 s1, 0
	s_cselect_b32 s21, s23, s24
	s_cselect_b32 s20, s22, s7
	s_load_dword s1, s[4:5], 0x44
	s_cbranch_execnz .LBB0_3
.LBB0_2:
	v_cvt_f32_u32_e32 v1, s0
	s_sub_i32 s2, 0, s0
	s_mov_b32 s21, 0
	v_rcp_iflag_f32_e32 v1, v1
	v_mul_f32_e32 v1, 0x4f7ffffe, v1
	v_cvt_u32_f32_e32 v1, v1
	v_readfirstlane_b32 s3, v1
	s_mul_i32 s2, s2, s3
	s_mul_hi_u32 s2, s3, s2
	s_add_i32 s3, s3, s2
	s_mul_hi_u32 s2, s18, s3
	s_mul_i32 s4, s2, s0
	s_sub_i32 s4, s18, s4
	s_add_i32 s3, s2, 1
	s_sub_i32 s5, s4, s0
	s_cmp_ge_u32 s4, s0
	s_cselect_b32 s2, s3, s2
	s_cselect_b32 s4, s5, s4
	s_add_i32 s3, s2, 1
	s_cmp_ge_u32 s4, s0
	s_cselect_b32 s20, s3, s2
.LBB0_3:
	s_waitcnt lgkmcnt(0)
	s_and_b32 s1, 0xffff, s1
	s_mul_i32 s6, s6, s1
	v_add_u32_e32 v0, s6, v0
	v_mov_b32_e32 v2, s12
	v_ashrrev_i32_e32 v1, 31, v0
	v_mov_b32_e32 v3, s13
	v_mul_lo_u32 v4, s20, v1
	v_mad_u64_u32 v[8:9], s[2:3], s20, v0, v[2:3]
	v_mul_lo_u32 v2, s21, v0
	s_add_i32 s0, s0, -1
	v_add_co_u32_e32 v3, vcc, s20, v8
	v_add3_u32 v9, v2, v9, v4
	v_mov_b32_e32 v2, s21
	s_add_u32 s1, s12, s18
	v_addc_co_u32_e32 v2, vcc, v9, v2, vcc
	s_addc_u32 s2, s13, s19
	v_mov_b32_e32 v4, s2
	v_cmp_eq_u32_e32 vcc, s0, v0
	v_cndmask_b32_e32 v13, v2, v4, vcc
	v_mov_b32_e32 v2, s1
	v_cndmask_b32_e32 v12, v3, v2, vcc
	v_sub_co_u32_e32 v2, vcc, v12, v8
	v_lshlrev_b64 v[4:5], 3, v[0:1]
	v_subb_co_u32_e32 v3, vcc, v13, v9, vcc
	v_mov_b32_e32 v1, s9
	v_add_co_u32_e32 v0, vcc, s8, v4
	v_addc_co_u32_e32 v1, vcc, v1, v5, vcc
	v_cmp_ne_u64_e32 vcc, v[12:13], v[8:9]
	v_mov_b32_e32 v16, -1
	v_add_co_u32_e64 v6, s[0:1], v8, v2
	v_mov_b32_e32 v17, -1
	v_addc_co_u32_e64 v7, s[0:1], v9, v3, s[0:1]
	global_store_dwordx2 v[0:1], v[2:3], off
	s_and_saveexec_b64 s[2:3], vcc
	s_cbranch_execz .LBB0_9
; %bb.4:
	v_mov_b32_e32 v16, -1
	v_mov_b32_e32 v17, -1
	s_mov_b64 s[4:5], 0
	v_mov_b32_e32 v1, 0
	s_movk_i32 s8, 0x1000
	v_mov_b32_e32 v2, 3
                                        ; implicit-def: $sgpr6_sgpr7
	s_branch .LBB0_6
.LBB0_5:                                ;   in Loop: Header=BB0_6 Depth=1
	s_or_b64 exec, exec, s[0:1]
	s_and_b64 s[0:1], exec, s[6:7]
	s_or_b64 s[4:5], s[0:1], s[4:5]
	s_andn2_b64 exec, exec, s[4:5]
	s_cbranch_execz .LBB0_8
.LBB0_6:                                ; =>This Inner Loop Header: Depth=1
	v_sub_co_u32_e64 v10, s[0:1], v12, v8
	v_and_b32_e32 v0, 3, v8
	v_subb_co_u32_e64 v11, s[0:1], v13, v9, s[0:1]
	v_cmp_ne_u64_e32 vcc, 0, v[0:1]
	v_cmp_gt_i64_e64 s[0:1], 20, v[10:11]
	s_or_b64 s[6:7], s[6:7], exec
	s_or_b64 s[12:13], vcc, s[0:1]
	s_and_saveexec_b64 s[0:1], s[12:13]
	s_cbranch_execz .LBB0_5
; %bb.7:                                ;   in Loop: Header=BB0_6 Depth=1
	global_load_ubyte v0, v[8:9], off
	v_mov_b32_e32 v3, s15
	v_lshrrev_b64 v[14:15], 8, v[16:17]
	s_andn2_b64 s[6:7], s[6:7], exec
	s_waitcnt vmcnt(0)
	v_xor_b32_e32 v0, v0, v16
	v_lshlrev_b32_sdwa v0, v2, v0 dst_sel:DWORD dst_unused:UNUSED_PAD src0_sel:DWORD src1_sel:BYTE_0
	v_add_co_u32_e32 v0, vcc, s14, v0
	v_addc_co_u32_e32 v3, vcc, 0, v3, vcc
	v_add_co_u32_e32 v10, vcc, s8, v0
	v_addc_co_u32_e32 v11, vcc, 0, v3, vcc
	global_load_dwordx2 v[10:11], v[10:11], off offset:2048
	v_add_co_u32_e32 v8, vcc, 1, v8
	v_addc_co_u32_e32 v9, vcc, 0, v9, vcc
	v_cmp_ge_u64_e32 vcc, v[8:9], v[6:7]
	s_and_b64 s[12:13], vcc, exec
	s_or_b64 s[6:7], s[6:7], s[12:13]
	s_waitcnt vmcnt(0)
	v_xor_b32_e32 v17, v11, v15
	v_xor_b32_e32 v16, v10, v14
	s_branch .LBB0_5
.LBB0_8:
	s_or_b64 exec, exec, s[4:5]
.LBB0_9:
	s_or_b64 exec, exec, s[2:3]
	v_cmp_ne_u64_e32 vcc, v[8:9], v[6:7]
	s_and_saveexec_b64 s[0:1], vcc
	s_cbranch_execz .LBB0_19
; %bb.10:
	global_load_dwordx4 v[0:3], v[8:9], off
	global_load_dword v24, v[8:9], off offset:16
	v_add_co_u32_e32 v8, vcc, 20, v8
	v_addc_co_u32_e32 v9, vcc, 0, v9, vcc
	v_sub_co_u32_e32 v10, vcc, v12, v8
	v_subb_co_u32_e32 v11, vcc, v13, v9, vcc
	v_cmp_lt_i64_e32 vcc, 19, v[10:11]
	v_mov_b32_e32 v10, 0
	v_mov_b32_e32 v14, 0
	;; [unrolled: 1-line block ×10, first 2 shown]
	s_and_saveexec_b64 s[2:3], vcc
	s_cbranch_execz .LBB0_14
; %bb.11:
	v_mov_b32_e32 v22, 0
	v_mov_b32_e32 v10, 0
	;; [unrolled: 1-line block ×6, first 2 shown]
	s_mov_b64 s[4:5], 0
	v_mov_b32_e32 v11, 0
	v_mov_b32_e32 v15, 0
	;; [unrolled: 1-line block ×5, first 2 shown]
	s_movk_i32 s6, 0x1000
	v_mov_b32_e32 v25, 3
.LBB0_12:                               ; =>This Inner Loop Header: Depth=1
	v_xor_b32_e32 v16, v16, v22
	v_xor_b32_e32 v17, v17, v20
	s_waitcnt vmcnt(0)
	v_xor_b32_e32 v20, v0, v16
	v_xor_b32_e32 v0, v21, v18
	v_xor_b32_e32 v16, v1, v17
	v_xor_b32_e32 v1, v19, v14
	v_xor_b32_e32 v14, v2, v0
	v_lshlrev_b32_sdwa v0, v25, v20 dst_sel:DWORD dst_unused:UNUSED_PAD src0_sel:DWORD src1_sel:BYTE_1
	v_xor_b32_e32 v2, v3, v1
	global_load_dwordx2 v[0:1], v0, s[16:17] offset:2048
	v_lshlrev_b32_sdwa v28, v25, v20 dst_sel:DWORD dst_unused:UNUSED_PAD src0_sel:DWORD src1_sel:BYTE_0
	v_lshlrev_b32_sdwa v3, v25, v16 dst_sel:DWORD dst_unused:UNUSED_PAD src0_sel:DWORD src1_sel:BYTE_0
	v_lshlrev_b32_sdwa v17, v25, v16 dst_sel:DWORD dst_unused:UNUSED_PAD src0_sel:DWORD src1_sel:BYTE_1
	global_load_dwordx2 v[18:19], v28, s[16:17]
	global_load_dwordx2 v[21:22], v3, s[16:17]
	global_load_dwordx2 v[26:27], v17, s[16:17] offset:2048
	v_lshlrev_b32_sdwa v3, v25, v14 dst_sel:DWORD dst_unused:UNUSED_PAD src0_sel:DWORD src1_sel:BYTE_0
	v_lshlrev_b32_sdwa v17, v25, v14 dst_sel:DWORD dst_unused:UNUSED_PAD src0_sel:DWORD src1_sel:BYTE_1
	global_load_dwordx2 v[28:29], v3, s[16:17]
	global_load_dwordx2 v[30:31], v17, s[16:17] offset:2048
	v_xor_b32_e32 v3, v15, v10
	s_waitcnt vmcnt(6)
	v_xor_b32_e32 v3, v24, v3
	v_lshlrev_b32_sdwa v10, v25, v2 dst_sel:DWORD dst_unused:UNUSED_PAD src0_sel:DWORD src1_sel:BYTE_0
	v_lshlrev_b32_sdwa v15, v25, v3 dst_sel:DWORD dst_unused:UNUSED_PAD src0_sel:DWORD src1_sel:BYTE_0
	global_load_dwordx2 v[32:33], v10, s[16:17]
	global_load_dwordx2 v[34:35], v15, s[16:17]
	s_waitcnt vmcnt(6)
	v_xor_b32_e32 v18, v0, v18
	v_lshlrev_b32_sdwa v0, v25, v20 dst_sel:DWORD dst_unused:UNUSED_PAD src0_sel:DWORD src1_sel:BYTE_2
	v_add_co_u32_e32 v0, vcc, s16, v0
	v_xor_b32_e32 v17, v1, v19
	s_waitcnt vmcnt(4)
	v_xor_b32_e32 v15, v26, v21
	v_lshlrev_b32_sdwa v1, v25, v16 dst_sel:DWORD dst_unused:UNUSED_PAD src0_sel:DWORD src1_sel:BYTE_2
	v_addc_co_u32_e32 v21, vcc, 0, v23, vcc
	v_add_co_u32_e32 v24, vcc, s16, v1
	v_xor_b32_e32 v10, v27, v22
	v_addc_co_u32_e32 v27, vcc, 0, v23, vcc
	v_add_co_u32_e32 v0, vcc, s6, v0
	v_addc_co_u32_e32 v1, vcc, 0, v21, vcc
	v_add_co_u32_e32 v26, vcc, s6, v24
	v_addc_co_u32_e32 v27, vcc, 0, v27, vcc
	v_lshlrev_b32_sdwa v21, v25, v2 dst_sel:DWORD dst_unused:UNUSED_PAD src0_sel:DWORD src1_sel:BYTE_1
	s_waitcnt vmcnt(2)
	v_xor_b32_e32 v19, v31, v29
	v_xor_b32_e32 v22, v30, v28
	global_load_dwordx2 v[29:30], v[0:1], off
	s_nop 0
	global_load_dwordx2 v[0:1], v[26:27], off
	s_nop 0
	global_load_dwordx2 v[26:27], v21, s[16:17] offset:2048
	v_lshlrev_b32_sdwa v21, v25, v3 dst_sel:DWORD dst_unused:UNUSED_PAD src0_sel:DWORD src1_sel:BYTE_1
	global_load_dwordx2 v[36:37], v21, s[16:17] offset:2048
	v_lshlrev_b32_sdwa v20, v25, v20 dst_sel:DWORD dst_unused:UNUSED_PAD src0_sel:DWORD src1_sel:BYTE_3
	v_lshlrev_b32_sdwa v21, v25, v3 dst_sel:DWORD dst_unused:UNUSED_PAD src0_sel:DWORD src1_sel:BYTE_2
	v_lshlrev_b32_sdwa v3, v25, v3 dst_sel:DWORD dst_unused:UNUSED_PAD src0_sel:DWORD src1_sel:BYTE_3
	s_waitcnt vmcnt(2)
	v_xor_b32_e32 v15, v15, v0
	s_waitcnt vmcnt(1)
	v_xor_b32_e32 v24, v27, v33
	v_xor_b32_e32 v33, v17, v30
	v_add_co_u32_e32 v17, vcc, s16, v20
	s_waitcnt vmcnt(0)
	v_xor_b32_e32 v27, v36, v34
	v_xor_b32_e32 v34, v18, v29
	v_addc_co_u32_e32 v18, vcc, 0, v23, vcc
	v_add_co_u32_e32 v17, vcc, s6, v17
	v_addc_co_u32_e32 v18, vcc, 0, v18, vcc
	global_load_dwordx2 v[29:30], v[17:18], off offset:2048
	v_add_co_u32_e32 v20, vcc, s16, v21
	v_addc_co_u32_e32 v21, vcc, 0, v23, vcc
	v_add_co_u32_e32 v20, vcc, s6, v20
	v_addc_co_u32_e32 v21, vcc, 0, v21, vcc
	v_xor_b32_e32 v28, v26, v32
	global_load_dwordx2 v[31:32], v[20:21], off
	v_lshlrev_b32_sdwa v18, v25, v16 dst_sel:DWORD dst_unused:UNUSED_PAD src0_sel:DWORD src1_sel:BYTE_3
	v_add_co_u32_e32 v0, vcc, s16, v18
	v_xor_b32_e32 v10, v10, v1
	v_addc_co_u32_e32 v1, vcc, 0, v23, vcc
	v_add_co_u32_e32 v0, vcc, s6, v0
	v_addc_co_u32_e32 v1, vcc, 0, v1, vcc
	v_lshlrev_b32_sdwa v18, v25, v14 dst_sel:DWORD dst_unused:UNUSED_PAD src0_sel:DWORD src1_sel:BYTE_3
	v_add_co_u32_e32 v18, vcc, s16, v18
	v_addc_co_u32_e32 v21, vcc, 0, v23, vcc
	v_add_co_u32_e32 v20, vcc, s6, v18
	v_addc_co_u32_e32 v21, vcc, 0, v21, vcc
	v_lshlrev_b32_sdwa v18, v25, v2 dst_sel:DWORD dst_unused:UNUSED_PAD src0_sel:DWORD src1_sel:BYTE_3
	v_add_co_u32_e32 v18, vcc, s16, v18
	v_xor_b32_e32 v26, v37, v35
	v_lshlrev_b32_sdwa v2, v25, v2 dst_sel:DWORD dst_unused:UNUSED_PAD src0_sel:DWORD src1_sel:BYTE_2
	s_waitcnt vmcnt(1)
	v_xor_b32_e32 v17, v33, v30
	v_addc_co_u32_e32 v30, vcc, 0, v23, vcc
	v_xor_b32_e32 v16, v34, v29
	v_add_co_u32_e32 v29, vcc, s6, v18
	v_addc_co_u32_e32 v30, vcc, 0, v30, vcc
	v_add_co_u32_e32 v3, vcc, s16, v3
	v_addc_co_u32_e32 v18, vcc, 0, v23, vcc
	;; [unrolled: 2-line block ×3, first 2 shown]
	global_load_dwordx2 v[0:1], v[0:1], off offset:2048
	s_nop 0
	global_load_dwordx2 v[35:36], v[20:21], off offset:2048
	s_nop 0
	;; [unrolled: 2-line block ×3, first 2 shown]
	global_load_dwordx2 v[33:34], v[33:34], off offset:2048
	s_waitcnt vmcnt(4)
	v_xor_b32_e32 v26, v26, v32
	v_xor_b32_e32 v27, v27, v31
	s_waitcnt vmcnt(3)
	v_xor_b32_e32 v20, v15, v0
	v_lshlrev_b32_sdwa v0, v25, v14 dst_sel:DWORD dst_unused:UNUSED_PAD src0_sel:DWORD src1_sel:BYTE_2
	v_add_co_u32_e32 v0, vcc, s16, v0
	v_xor_b32_e32 v21, v10, v1
	v_addc_co_u32_e32 v1, vcc, 0, v23, vcc
	v_add_co_u32_e32 v0, vcc, s6, v0
	v_addc_co_u32_e32 v1, vcc, 0, v1, vcc
	v_add_co_u32_e32 v2, vcc, s16, v2
	;; [unrolled: 2-line block ×3, first 2 shown]
	v_addc_co_u32_e32 v3, vcc, 0, v3, vcc
	global_load_dwordx2 v[0:1], v[0:1], off
	s_nop 0
	global_load_dwordx2 v[2:3], v[2:3], off
	s_waitcnt vmcnt(1)
	v_xor_b32_e32 v1, v19, v1
	v_xor_b32_e32 v0, v22, v0
	;; [unrolled: 1-line block ×4, first 2 shown]
	s_waitcnt vmcnt(0)
	v_xor_b32_e32 v0, v24, v3
	v_xor_b32_e32 v1, v28, v2
	;; [unrolled: 1-line block ×4, first 2 shown]
	global_load_dword v24, v[8:9], off offset:16
	global_load_dwordx4 v[0:3], v[8:9], off
	v_add_co_u32_e32 v8, vcc, 20, v8
	v_addc_co_u32_e32 v9, vcc, 0, v9, vcc
	v_sub_co_u32_e32 v10, vcc, v12, v8
	v_mov_b32_e32 v22, v11
	v_subb_co_u32_e32 v11, vcc, v13, v9, vcc
	v_cmp_gt_i64_e32 vcc, 20, v[10:11]
	v_xor_b32_e32 v11, v26, v34
	s_or_b64 s[4:5], vcc, s[4:5]
	v_xor_b32_e32 v10, v27, v33
	s_andn2_b64 exec, exec, s[4:5]
	s_cbranch_execnz .LBB0_12
; %bb.13:
	s_or_b64 exec, exec, s[4:5]
.LBB0_14:
	s_or_b64 exec, exec, s[2:3]
	v_xor_b32_e32 v12, v22, v16
	s_waitcnt vmcnt(0)
	v_xor_b32_e32 v16, v0, v12
	v_mov_b32_e32 v0, 3
	v_lshlrev_b32_sdwa v22, v0, v16 dst_sel:DWORD dst_unused:UNUSED_PAD src0_sel:DWORD src1_sel:BYTE_2
	v_mov_b32_e32 v23, s15
	v_add_co_u32_e32 v22, vcc, s14, v22
	v_addc_co_u32_e32 v23, vcc, 0, v23, vcc
	v_add_co_u32_e32 v22, vcc, 0x1000, v22
	v_lshlrev_b32_sdwa v12, v0, v16 dst_sel:DWORD dst_unused:UNUSED_PAD src0_sel:DWORD src1_sel:BYTE_0
	v_lshlrev_b32_sdwa v31, v0, v16 dst_sel:DWORD dst_unused:UNUSED_PAD src0_sel:DWORD src1_sel:BYTE_1
	v_addc_co_u32_e32 v23, vcc, 0, v23, vcc
	v_lshlrev_b32_sdwa v16, v0, v16 dst_sel:DWORD dst_unused:UNUSED_PAD src0_sel:DWORD src1_sel:BYTE_3
	global_load_dwordx2 v[12:13], v12, s[14:15]
	v_mov_b32_e32 v25, s15
	v_add_co_u32_e32 v16, vcc, s14, v16
	s_movk_i32 s6, 0x1000
	v_addc_co_u32_e32 v26, vcc, 0, v25, vcc
	v_add_co_u32_e32 v25, vcc, s6, v16
	v_addc_co_u32_e32 v26, vcc, 0, v26, vcc
	global_load_dwordx2 v[27:28], v31, s[14:15] offset:2048
	global_load_dwordx2 v[29:30], v[22:23], off
                                        ; kill: killed $vgpr31
                                        ; kill: killed $vgpr22 killed $vgpr23
	s_nop 0
	global_load_dwordx2 v[22:23], v[25:26], off offset:2048
	v_xor_b32_e32 v16, v17, v20
	v_mov_b32_e32 v20, s15
	v_mov_b32_e32 v25, s15
	s_waitcnt vmcnt(3)
	v_xor_b32_e32 v12, v16, v12
	v_xor_b32_e32 v35, v21, v13
	s_waitcnt vmcnt(2)
	v_xor_b32_e32 v12, v12, v27
	s_waitcnt vmcnt(1)
	;; [unrolled: 2-line block ×3, first 2 shown]
	v_xor_b32_e32 v12, v12, v22
	v_xor_b32_e32 v1, v1, v12
	v_lshlrev_b32_sdwa v21, v0, v1 dst_sel:DWORD dst_unused:UNUSED_PAD src0_sel:DWORD src1_sel:BYTE_0
	v_lshlrev_b32_sdwa v26, v0, v1 dst_sel:DWORD dst_unused:UNUSED_PAD src0_sel:DWORD src1_sel:BYTE_2
	v_lshlrev_b32_sdwa v22, v0, v1 dst_sel:DWORD dst_unused:UNUSED_PAD src0_sel:DWORD src1_sel:BYTE_1
	global_load_dwordx2 v[12:13], v21, s[14:15]
	global_load_dwordx2 v[16:17], v22, s[14:15] offset:2048
	v_add_co_u32_e32 v21, vcc, s14, v26
	v_lshlrev_b32_sdwa v1, v0, v1 dst_sel:DWORD dst_unused:UNUSED_PAD src0_sel:DWORD src1_sel:BYTE_3
	v_addc_co_u32_e32 v22, vcc, 0, v20, vcc
	v_add_co_u32_e32 v1, vcc, s14, v1
	v_addc_co_u32_e32 v26, vcc, 0, v25, vcc
	v_add_co_u32_e32 v20, vcc, s6, v21
	;; [unrolled: 2-line block ×3, first 2 shown]
	v_addc_co_u32_e32 v26, vcc, 0, v26, vcc
	global_load_dwordx2 v[31:32], v[20:21], off
	global_load_dwordx2 v[33:34], v[25:26], off offset:2048
	v_xor_b32_e32 v20, v35, v28
	v_xor_b32_e32 v20, v20, v30
	;; [unrolled: 1-line block ×3, first 2 shown]
	v_mov_b32_e32 v1, s15
	v_mov_b32_e32 v21, s15
	s_waitcnt vmcnt(3)
	v_xor_b32_e32 v12, v12, v18
	s_waitcnt vmcnt(2)
	v_xor_b32_e32 v12, v12, v16
	v_xor_b32_e32 v12, v12, v20
	s_waitcnt vmcnt(1)
	v_xor_b32_e32 v12, v12, v31
	s_waitcnt vmcnt(0)
	v_xor_b32_e32 v12, v12, v33
	v_xor_b32_e32 v2, v2, v12
	v_lshlrev_b32_sdwa v18, v0, v2 dst_sel:DWORD dst_unused:UNUSED_PAD src0_sel:DWORD src1_sel:BYTE_2
	v_add_co_u32_e32 v18, vcc, s14, v18
	v_lshlrev_b32_sdwa v12, v0, v2 dst_sel:DWORD dst_unused:UNUSED_PAD src0_sel:DWORD src1_sel:BYTE_0
	v_lshlrev_b32_sdwa v16, v0, v2 dst_sel:DWORD dst_unused:UNUSED_PAD src0_sel:DWORD src1_sel:BYTE_1
	v_lshlrev_b32_sdwa v2, v0, v2 dst_sel:DWORD dst_unused:UNUSED_PAD src0_sel:DWORD src1_sel:BYTE_3
	v_addc_co_u32_e32 v20, vcc, 0, v1, vcc
	v_add_co_u32_e32 v22, vcc, s14, v2
	v_addc_co_u32_e32 v21, vcc, 0, v21, vcc
	v_add_co_u32_e32 v1, vcc, s6, v18
	;; [unrolled: 2-line block ×3, first 2 shown]
	v_addc_co_u32_e32 v21, vcc, 0, v21, vcc
	global_load_dwordx2 v[22:23], v12, s[14:15]
	global_load_dwordx2 v[25:26], v16, s[14:15] offset:2048
	global_load_dwordx2 v[27:28], v[1:2], off
	global_load_dwordx2 v[29:30], v[20:21], off offset:2048
	v_xor_b32_e32 v1, v13, v19
	v_xor_b32_e32 v1, v1, v17
	;; [unrolled: 1-line block ×4, first 2 shown]
	v_mov_b32_e32 v2, s15
	v_mov_b32_e32 v12, s15
	s_waitcnt vmcnt(3)
	v_xor_b32_e32 v13, v22, v14
	s_waitcnt vmcnt(2)
	v_xor_b32_e32 v13, v13, v25
	;; [unrolled: 2-line block ×4, first 2 shown]
	v_xor_b32_e32 v1, v13, v1
	v_xor_b32_e32 v1, v3, v1
	v_lshlrev_b32_sdwa v13, v0, v1 dst_sel:DWORD dst_unused:UNUSED_PAD src0_sel:DWORD src1_sel:BYTE_2
	v_add_co_u32_e32 v13, vcc, s14, v13
	v_lshlrev_b32_sdwa v3, v0, v1 dst_sel:DWORD dst_unused:UNUSED_PAD src0_sel:DWORD src1_sel:BYTE_0
	v_lshlrev_b32_sdwa v14, v0, v1 dst_sel:DWORD dst_unused:UNUSED_PAD src0_sel:DWORD src1_sel:BYTE_1
	v_lshlrev_b32_sdwa v1, v0, v1 dst_sel:DWORD dst_unused:UNUSED_PAD src0_sel:DWORD src1_sel:BYTE_3
	v_addc_co_u32_e32 v2, vcc, 0, v2, vcc
	v_add_co_u32_e32 v16, vcc, s14, v1
	v_addc_co_u32_e32 v17, vcc, 0, v12, vcc
	v_add_co_u32_e32 v1, vcc, s6, v13
	v_addc_co_u32_e32 v2, vcc, 0, v2, vcc
	v_add_co_u32_e32 v12, vcc, s6, v16
	v_addc_co_u32_e32 v13, vcc, 0, v17, vcc
	global_load_dwordx2 v[16:17], v3, s[14:15]
	global_load_dwordx2 v[18:19], v14, s[14:15] offset:2048
	global_load_dwordx2 v[20:21], v[1:2], off
	global_load_dwordx2 v[31:32], v[12:13], off offset:2048
	v_xor_b32_e32 v3, v23, v15
	v_xor_b32_e32 v3, v3, v26
	;; [unrolled: 1-line block ×4, first 2 shown]
	v_mov_b32_e32 v1, s15
	v_mov_b32_e32 v2, s15
	s_waitcnt vmcnt(3)
	v_xor_b32_e32 v10, v16, v10
	s_waitcnt vmcnt(2)
	v_xor_b32_e32 v10, v10, v18
	;; [unrolled: 2-line block ×4, first 2 shown]
	v_xor_b32_e32 v3, v10, v3
	v_xor_b32_e32 v3, v24, v3
	v_lshlrev_b32_sdwa v12, v0, v3 dst_sel:DWORD dst_unused:UNUSED_PAD src0_sel:DWORD src1_sel:BYTE_2
	v_add_co_u32_e32 v12, vcc, s14, v12
	v_lshlrev_b32_sdwa v10, v0, v3 dst_sel:DWORD dst_unused:UNUSED_PAD src0_sel:DWORD src1_sel:BYTE_0
	v_lshlrev_b32_sdwa v13, v0, v3 dst_sel:DWORD dst_unused:UNUSED_PAD src0_sel:DWORD src1_sel:BYTE_1
	v_lshlrev_b32_sdwa v3, v0, v3 dst_sel:DWORD dst_unused:UNUSED_PAD src0_sel:DWORD src1_sel:BYTE_3
	v_addc_co_u32_e32 v14, vcc, 0, v1, vcc
	v_add_co_u32_e32 v3, vcc, s14, v3
	v_addc_co_u32_e32 v16, vcc, 0, v2, vcc
	v_add_co_u32_e32 v1, vcc, s6, v12
	;; [unrolled: 2-line block ×3, first 2 shown]
	global_load_dwordx2 v[14:15], v10, s[14:15]
	global_load_dwordx2 v[22:23], v13, s[14:15] offset:2048
	global_load_dwordx2 v[24:25], v[1:2], off
	v_addc_co_u32_e32 v13, vcc, 0, v16, vcc
	global_load_dwordx2 v[1:2], v[12:13], off offset:2048
	v_xor_b32_e32 v3, v17, v11
	v_xor_b32_e32 v3, v3, v19
	v_xor_b32_e32 v3, v3, v21
	v_xor_b32_e32 v3, v3, v32
	v_cmp_lt_u64_e32 vcc, v[8:9], v[6:7]
	s_waitcnt vmcnt(2)
	v_xor_b32_e32 v11, v22, v14
	v_xor_b32_e32 v10, v23, v15
	s_waitcnt vmcnt(1)
	v_xor_b32_e32 v11, v11, v24
	v_xor_b32_e32 v10, v10, v25
	;; [unrolled: 3-line block ×3, first 2 shown]
	v_xor_b32_e32 v16, v1, v3
	s_and_saveexec_b64 s[2:3], vcc
	s_cbranch_execz .LBB0_18
; %bb.15:
	s_mov_b64 s[4:5], 0
.LBB0_16:                               ; =>This Inner Loop Header: Depth=1
	global_load_ubyte v1, v[8:9], off
	v_mov_b32_e32 v2, s15
	v_lshrrev_b64 v[10:11], 8, v[16:17]
	s_waitcnt vmcnt(0)
	v_xor_b32_e32 v1, v1, v16
	v_lshlrev_b32_sdwa v1, v0, v1 dst_sel:DWORD dst_unused:UNUSED_PAD src0_sel:DWORD src1_sel:BYTE_0
	v_add_co_u32_e32 v1, vcc, s14, v1
	v_addc_co_u32_e32 v2, vcc, 0, v2, vcc
	v_add_co_u32_e32 v1, vcc, s6, v1
	v_addc_co_u32_e32 v2, vcc, 0, v2, vcc
	global_load_dwordx2 v[1:2], v[1:2], off offset:2048
	v_add_co_u32_e32 v8, vcc, 1, v8
	v_addc_co_u32_e32 v9, vcc, 0, v9, vcc
	v_cmp_ge_u64_e32 vcc, v[8:9], v[6:7]
	s_or_b64 s[4:5], vcc, s[4:5]
	s_waitcnt vmcnt(0)
	v_xor_b32_e32 v17, v2, v11
	v_xor_b32_e32 v16, v1, v10
	s_andn2_b64 exec, exec, s[4:5]
	s_cbranch_execnz .LBB0_16
; %bb.17:
	s_or_b64 exec, exec, s[4:5]
.LBB0_18:
	s_or_b64 exec, exec, s[2:3]
.LBB0_19:
	s_or_b64 exec, exec, s[0:1]
	v_mov_b32_e32 v3, s11
	v_add_co_u32_e32 v2, vcc, s10, v4
	v_not_b32_e32 v1, v17
	v_not_b32_e32 v0, v16
	v_addc_co_u32_e32 v3, vcc, v3, v5, vcc
	global_store_dwordx2 v[2:3], v[0:1], off
	s_endpgm
.LBB0_20:
                                        ; implicit-def: $sgpr20_sgpr21
	s_load_dword s1, s[4:5], 0x44
	s_branch .LBB0_2
	.section	.rodata,"a",@progbits
	.p2align	6, 0x0
	.amdhsa_kernel _Z12crc64_kernelPmS_PKhPKmS3_mi
		.amdhsa_group_segment_fixed_size 0
		.amdhsa_private_segment_fixed_size 0
		.amdhsa_kernarg_size 312
		.amdhsa_user_sgpr_count 6
		.amdhsa_user_sgpr_private_segment_buffer 1
		.amdhsa_user_sgpr_dispatch_ptr 0
		.amdhsa_user_sgpr_queue_ptr 0
		.amdhsa_user_sgpr_kernarg_segment_ptr 1
		.amdhsa_user_sgpr_dispatch_id 0
		.amdhsa_user_sgpr_flat_scratch_init 0
		.amdhsa_user_sgpr_private_segment_size 0
		.amdhsa_uses_dynamic_stack 0
		.amdhsa_system_sgpr_private_segment_wavefront_offset 0
		.amdhsa_system_sgpr_workgroup_id_x 1
		.amdhsa_system_sgpr_workgroup_id_y 0
		.amdhsa_system_sgpr_workgroup_id_z 0
		.amdhsa_system_sgpr_workgroup_info 0
		.amdhsa_system_vgpr_workitem_id 0
		.amdhsa_next_free_vgpr 38
		.amdhsa_next_free_sgpr 30
		.amdhsa_reserve_vcc 1
		.amdhsa_reserve_flat_scratch 0
		.amdhsa_float_round_mode_32 0
		.amdhsa_float_round_mode_16_64 0
		.amdhsa_float_denorm_mode_32 3
		.amdhsa_float_denorm_mode_16_64 3
		.amdhsa_dx10_clamp 1
		.amdhsa_ieee_mode 1
		.amdhsa_fp16_overflow 0
		.amdhsa_exception_fp_ieee_invalid_op 0
		.amdhsa_exception_fp_denorm_src 0
		.amdhsa_exception_fp_ieee_div_zero 0
		.amdhsa_exception_fp_ieee_overflow 0
		.amdhsa_exception_fp_ieee_underflow 0
		.amdhsa_exception_fp_ieee_inexact 0
		.amdhsa_exception_int_div_zero 0
	.end_amdhsa_kernel
	.text
.Lfunc_end0:
	.size	_Z12crc64_kernelPmS_PKhPKmS3_mi, .Lfunc_end0-_Z12crc64_kernelPmS_PKhPKmS3_mi
                                        ; -- End function
	.set _Z12crc64_kernelPmS_PKhPKmS3_mi.num_vgpr, 38
	.set _Z12crc64_kernelPmS_PKhPKmS3_mi.num_agpr, 0
	.set _Z12crc64_kernelPmS_PKhPKmS3_mi.numbered_sgpr, 30
	.set _Z12crc64_kernelPmS_PKhPKmS3_mi.num_named_barrier, 0
	.set _Z12crc64_kernelPmS_PKhPKmS3_mi.private_seg_size, 0
	.set _Z12crc64_kernelPmS_PKhPKmS3_mi.uses_vcc, 1
	.set _Z12crc64_kernelPmS_PKhPKmS3_mi.uses_flat_scratch, 0
	.set _Z12crc64_kernelPmS_PKhPKmS3_mi.has_dyn_sized_stack, 0
	.set _Z12crc64_kernelPmS_PKhPKmS3_mi.has_recursion, 0
	.set _Z12crc64_kernelPmS_PKhPKmS3_mi.has_indirect_call, 0
	.section	.AMDGPU.csdata,"",@progbits
; Kernel info:
; codeLenInByte = 2924
; TotalNumSgprs: 34
; NumVgprs: 38
; ScratchSize: 0
; MemoryBound: 0
; FloatMode: 240
; IeeeMode: 1
; LDSByteSize: 0 bytes/workgroup (compile time only)
; SGPRBlocks: 4
; VGPRBlocks: 9
; NumSGPRsForWavesPerEU: 34
; NumVGPRsForWavesPerEU: 38
; Occupancy: 6
; WaveLimiterHint : 1
; COMPUTE_PGM_RSRC2:SCRATCH_EN: 0
; COMPUTE_PGM_RSRC2:USER_SGPR: 6
; COMPUTE_PGM_RSRC2:TRAP_HANDLER: 0
; COMPUTE_PGM_RSRC2:TGID_X_EN: 1
; COMPUTE_PGM_RSRC2:TGID_Y_EN: 0
; COMPUTE_PGM_RSRC2:TGID_Z_EN: 0
; COMPUTE_PGM_RSRC2:TIDIG_COMP_CNT: 0
	.section	.AMDGPU.gpr_maximums,"",@progbits
	.set amdgpu.max_num_vgpr, 0
	.set amdgpu.max_num_agpr, 0
	.set amdgpu.max_num_sgpr, 0
	.section	.AMDGPU.csdata,"",@progbits
	.type	__hip_cuid_8d5207760c618ab1,@object ; @__hip_cuid_8d5207760c618ab1
	.section	.bss,"aw",@nobits
	.globl	__hip_cuid_8d5207760c618ab1
__hip_cuid_8d5207760c618ab1:
	.byte	0                               ; 0x0
	.size	__hip_cuid_8d5207760c618ab1, 1

	.ident	"AMD clang version 22.0.0git (https://github.com/RadeonOpenCompute/llvm-project roc-7.2.4 26084 f58b06dce1f9c15707c5f808fd002e18c2accf7e)"
	.section	".note.GNU-stack","",@progbits
	.addrsig
	.addrsig_sym __hip_cuid_8d5207760c618ab1
	.amdgpu_metadata
---
amdhsa.kernels:
  - .args:
      - .address_space:  global
        .offset:         0
        .size:           8
        .value_kind:     global_buffer
      - .address_space:  global
        .offset:         8
        .size:           8
        .value_kind:     global_buffer
      - .address_space:  global
        .offset:         16
        .size:           8
        .value_kind:     global_buffer
      - .address_space:  global
        .offset:         24
        .size:           8
        .value_kind:     global_buffer
      - .address_space:  global
        .offset:         32
        .size:           8
        .value_kind:     global_buffer
      - .offset:         40
        .size:           8
        .value_kind:     by_value
      - .offset:         48
        .size:           4
        .value_kind:     by_value
      - .offset:         56
        .size:           4
        .value_kind:     hidden_block_count_x
      - .offset:         60
        .size:           4
        .value_kind:     hidden_block_count_y
      - .offset:         64
        .size:           4
        .value_kind:     hidden_block_count_z
      - .offset:         68
        .size:           2
        .value_kind:     hidden_group_size_x
      - .offset:         70
        .size:           2
        .value_kind:     hidden_group_size_y
      - .offset:         72
        .size:           2
        .value_kind:     hidden_group_size_z
      - .offset:         74
        .size:           2
        .value_kind:     hidden_remainder_x
      - .offset:         76
        .size:           2
        .value_kind:     hidden_remainder_y
      - .offset:         78
        .size:           2
        .value_kind:     hidden_remainder_z
      - .offset:         96
        .size:           8
        .value_kind:     hidden_global_offset_x
      - .offset:         104
        .size:           8
        .value_kind:     hidden_global_offset_y
      - .offset:         112
        .size:           8
        .value_kind:     hidden_global_offset_z
      - .offset:         120
        .size:           2
        .value_kind:     hidden_grid_dims
    .group_segment_fixed_size: 0
    .kernarg_segment_align: 8
    .kernarg_segment_size: 312
    .language:       OpenCL C
    .language_version:
      - 2
      - 0
    .max_flat_workgroup_size: 1024
    .name:           _Z12crc64_kernelPmS_PKhPKmS3_mi
    .private_segment_fixed_size: 0
    .sgpr_count:     34
    .sgpr_spill_count: 0
    .symbol:         _Z12crc64_kernelPmS_PKhPKmS3_mi.kd
    .uniform_work_group_size: 1
    .uses_dynamic_stack: false
    .vgpr_count:     38
    .vgpr_spill_count: 0
    .wavefront_size: 64
amdhsa.target:   amdgcn-amd-amdhsa--gfx906
amdhsa.version:
  - 1
  - 2
...

	.end_amdgpu_metadata
